;; amdgpu-corpus repo=ROCm/rocFFT kind=compiled arch=gfx1030 opt=O3
	.text
	.amdgcn_target "amdgcn-amd-amdhsa--gfx1030"
	.amdhsa_code_object_version 6
	.protected	fft_rtc_back_len1638_factors_13_2_3_7_3_wgs_182_tpt_182_halfLds_dp_ip_CI_unitstride_sbrr_dirReg ; -- Begin function fft_rtc_back_len1638_factors_13_2_3_7_3_wgs_182_tpt_182_halfLds_dp_ip_CI_unitstride_sbrr_dirReg
	.globl	fft_rtc_back_len1638_factors_13_2_3_7_3_wgs_182_tpt_182_halfLds_dp_ip_CI_unitstride_sbrr_dirReg
	.p2align	8
	.type	fft_rtc_back_len1638_factors_13_2_3_7_3_wgs_182_tpt_182_halfLds_dp_ip_CI_unitstride_sbrr_dirReg,@function
fft_rtc_back_len1638_factors_13_2_3_7_3_wgs_182_tpt_182_halfLds_dp_ip_CI_unitstride_sbrr_dirReg: ; @fft_rtc_back_len1638_factors_13_2_3_7_3_wgs_182_tpt_182_halfLds_dp_ip_CI_unitstride_sbrr_dirReg
; %bb.0:
	s_clause 0x2
	s_load_dwordx4 s[8:11], s[4:5], 0x0
	s_load_dwordx2 s[2:3], s[4:5], 0x50
	s_load_dwordx2 s[12:13], s[4:5], 0x18
	v_mul_u32_u24_e32 v1, 0x169, v0
	v_mov_b32_e32 v3, 0
	v_add_nc_u32_sdwa v5, s6, v1 dst_sel:DWORD dst_unused:UNUSED_PAD src0_sel:DWORD src1_sel:WORD_1
	v_mov_b32_e32 v1, 0
	v_mov_b32_e32 v6, v3
	v_mov_b32_e32 v2, 0
	s_waitcnt lgkmcnt(0)
	v_cmp_lt_u64_e64 s0, s[10:11], 2
	s_and_b32 vcc_lo, exec_lo, s0
	s_cbranch_vccnz .LBB0_8
; %bb.1:
	s_load_dwordx2 s[0:1], s[4:5], 0x10
	v_mov_b32_e32 v1, 0
	s_add_u32 s6, s12, 8
	v_mov_b32_e32 v2, 0
	s_addc_u32 s7, s13, 0
	s_mov_b64 s[16:17], 1
	s_waitcnt lgkmcnt(0)
	s_add_u32 s14, s0, 8
	s_addc_u32 s15, s1, 0
.LBB0_2:                                ; =>This Inner Loop Header: Depth=1
	s_load_dwordx2 s[18:19], s[14:15], 0x0
                                        ; implicit-def: $vgpr7_vgpr8
	s_mov_b32 s0, exec_lo
	s_waitcnt lgkmcnt(0)
	v_or_b32_e32 v4, s19, v6
	v_cmpx_ne_u64_e32 0, v[3:4]
	s_xor_b32 s1, exec_lo, s0
	s_cbranch_execz .LBB0_4
; %bb.3:                                ;   in Loop: Header=BB0_2 Depth=1
	v_cvt_f32_u32_e32 v4, s18
	v_cvt_f32_u32_e32 v7, s19
	s_sub_u32 s0, 0, s18
	s_subb_u32 s20, 0, s19
	v_fmac_f32_e32 v4, 0x4f800000, v7
	v_rcp_f32_e32 v4, v4
	v_mul_f32_e32 v4, 0x5f7ffffc, v4
	v_mul_f32_e32 v7, 0x2f800000, v4
	v_trunc_f32_e32 v7, v7
	v_fmac_f32_e32 v4, 0xcf800000, v7
	v_cvt_u32_f32_e32 v7, v7
	v_cvt_u32_f32_e32 v4, v4
	v_mul_lo_u32 v8, s0, v7
	v_mul_hi_u32 v9, s0, v4
	v_mul_lo_u32 v10, s20, v4
	v_add_nc_u32_e32 v8, v9, v8
	v_mul_lo_u32 v9, s0, v4
	v_add_nc_u32_e32 v8, v8, v10
	v_mul_hi_u32 v10, v4, v9
	v_mul_lo_u32 v11, v4, v8
	v_mul_hi_u32 v12, v4, v8
	v_mul_hi_u32 v13, v7, v9
	v_mul_lo_u32 v9, v7, v9
	v_mul_hi_u32 v14, v7, v8
	v_mul_lo_u32 v8, v7, v8
	v_add_co_u32 v10, vcc_lo, v10, v11
	v_add_co_ci_u32_e32 v11, vcc_lo, 0, v12, vcc_lo
	v_add_co_u32 v9, vcc_lo, v10, v9
	v_add_co_ci_u32_e32 v9, vcc_lo, v11, v13, vcc_lo
	v_add_co_ci_u32_e32 v10, vcc_lo, 0, v14, vcc_lo
	v_add_co_u32 v8, vcc_lo, v9, v8
	v_add_co_ci_u32_e32 v9, vcc_lo, 0, v10, vcc_lo
	v_add_co_u32 v4, vcc_lo, v4, v8
	v_add_co_ci_u32_e32 v7, vcc_lo, v7, v9, vcc_lo
	v_mul_hi_u32 v8, s0, v4
	v_mul_lo_u32 v10, s20, v4
	v_mul_lo_u32 v9, s0, v7
	v_add_nc_u32_e32 v8, v8, v9
	v_mul_lo_u32 v9, s0, v4
	v_add_nc_u32_e32 v8, v8, v10
	v_mul_hi_u32 v10, v4, v9
	v_mul_lo_u32 v11, v4, v8
	v_mul_hi_u32 v12, v4, v8
	v_mul_hi_u32 v13, v7, v9
	v_mul_lo_u32 v9, v7, v9
	v_mul_hi_u32 v14, v7, v8
	v_mul_lo_u32 v8, v7, v8
	v_add_co_u32 v10, vcc_lo, v10, v11
	v_add_co_ci_u32_e32 v11, vcc_lo, 0, v12, vcc_lo
	v_add_co_u32 v9, vcc_lo, v10, v9
	v_add_co_ci_u32_e32 v9, vcc_lo, v11, v13, vcc_lo
	v_add_co_ci_u32_e32 v10, vcc_lo, 0, v14, vcc_lo
	v_add_co_u32 v8, vcc_lo, v9, v8
	v_add_co_ci_u32_e32 v9, vcc_lo, 0, v10, vcc_lo
	v_add_co_u32 v4, vcc_lo, v4, v8
	v_add_co_ci_u32_e32 v11, vcc_lo, v7, v9, vcc_lo
	v_mul_hi_u32 v13, v5, v4
	v_mad_u64_u32 v[9:10], null, v6, v4, 0
	v_mad_u64_u32 v[7:8], null, v5, v11, 0
	;; [unrolled: 1-line block ×3, first 2 shown]
	v_add_co_u32 v4, vcc_lo, v13, v7
	v_add_co_ci_u32_e32 v7, vcc_lo, 0, v8, vcc_lo
	v_add_co_u32 v4, vcc_lo, v4, v9
	v_add_co_ci_u32_e32 v4, vcc_lo, v7, v10, vcc_lo
	v_add_co_ci_u32_e32 v7, vcc_lo, 0, v12, vcc_lo
	v_add_co_u32 v4, vcc_lo, v4, v11
	v_add_co_ci_u32_e32 v9, vcc_lo, 0, v7, vcc_lo
	v_mul_lo_u32 v10, s19, v4
	v_mad_u64_u32 v[7:8], null, s18, v4, 0
	v_mul_lo_u32 v11, s18, v9
	v_sub_co_u32 v7, vcc_lo, v5, v7
	v_add3_u32 v8, v8, v11, v10
	v_sub_nc_u32_e32 v10, v6, v8
	v_subrev_co_ci_u32_e64 v10, s0, s19, v10, vcc_lo
	v_add_co_u32 v11, s0, v4, 2
	v_add_co_ci_u32_e64 v12, s0, 0, v9, s0
	v_sub_co_u32 v13, s0, v7, s18
	v_sub_co_ci_u32_e32 v8, vcc_lo, v6, v8, vcc_lo
	v_subrev_co_ci_u32_e64 v10, s0, 0, v10, s0
	v_cmp_le_u32_e32 vcc_lo, s18, v13
	v_cmp_eq_u32_e64 s0, s19, v8
	v_cndmask_b32_e64 v13, 0, -1, vcc_lo
	v_cmp_le_u32_e32 vcc_lo, s19, v10
	v_cndmask_b32_e64 v14, 0, -1, vcc_lo
	v_cmp_le_u32_e32 vcc_lo, s18, v7
	;; [unrolled: 2-line block ×3, first 2 shown]
	v_cndmask_b32_e64 v15, 0, -1, vcc_lo
	v_cmp_eq_u32_e32 vcc_lo, s19, v10
	v_cndmask_b32_e64 v7, v15, v7, s0
	v_cndmask_b32_e32 v10, v14, v13, vcc_lo
	v_add_co_u32 v13, vcc_lo, v4, 1
	v_add_co_ci_u32_e32 v14, vcc_lo, 0, v9, vcc_lo
	v_cmp_ne_u32_e32 vcc_lo, 0, v10
	v_cndmask_b32_e32 v8, v14, v12, vcc_lo
	v_cndmask_b32_e32 v10, v13, v11, vcc_lo
	v_cmp_ne_u32_e32 vcc_lo, 0, v7
	v_cndmask_b32_e32 v8, v9, v8, vcc_lo
	v_cndmask_b32_e32 v7, v4, v10, vcc_lo
.LBB0_4:                                ;   in Loop: Header=BB0_2 Depth=1
	s_andn2_saveexec_b32 s0, s1
	s_cbranch_execz .LBB0_6
; %bb.5:                                ;   in Loop: Header=BB0_2 Depth=1
	v_cvt_f32_u32_e32 v4, s18
	s_sub_i32 s1, 0, s18
	v_rcp_iflag_f32_e32 v4, v4
	v_mul_f32_e32 v4, 0x4f7ffffe, v4
	v_cvt_u32_f32_e32 v4, v4
	v_mul_lo_u32 v7, s1, v4
	v_mul_hi_u32 v7, v4, v7
	v_add_nc_u32_e32 v4, v4, v7
	v_mul_hi_u32 v4, v5, v4
	v_mul_lo_u32 v7, v4, s18
	v_add_nc_u32_e32 v8, 1, v4
	v_sub_nc_u32_e32 v7, v5, v7
	v_subrev_nc_u32_e32 v9, s18, v7
	v_cmp_le_u32_e32 vcc_lo, s18, v7
	v_cndmask_b32_e32 v7, v7, v9, vcc_lo
	v_cndmask_b32_e32 v4, v4, v8, vcc_lo
	v_cmp_le_u32_e32 vcc_lo, s18, v7
	v_add_nc_u32_e32 v8, 1, v4
	v_cndmask_b32_e32 v7, v4, v8, vcc_lo
	v_mov_b32_e32 v8, v3
.LBB0_6:                                ;   in Loop: Header=BB0_2 Depth=1
	s_or_b32 exec_lo, exec_lo, s0
	s_load_dwordx2 s[0:1], s[6:7], 0x0
	v_mul_lo_u32 v4, v8, s18
	v_mul_lo_u32 v11, v7, s19
	v_mad_u64_u32 v[9:10], null, v7, s18, 0
	s_add_u32 s16, s16, 1
	s_addc_u32 s17, s17, 0
	s_add_u32 s6, s6, 8
	s_addc_u32 s7, s7, 0
	;; [unrolled: 2-line block ×3, first 2 shown]
	v_add3_u32 v4, v10, v11, v4
	v_sub_co_u32 v5, vcc_lo, v5, v9
	v_sub_co_ci_u32_e32 v4, vcc_lo, v6, v4, vcc_lo
	s_waitcnt lgkmcnt(0)
	v_mul_lo_u32 v6, s1, v5
	v_mul_lo_u32 v4, s0, v4
	v_mad_u64_u32 v[1:2], null, s0, v5, v[1:2]
	v_cmp_ge_u64_e64 s0, s[16:17], s[10:11]
	s_and_b32 vcc_lo, exec_lo, s0
	v_add3_u32 v2, v6, v2, v4
	s_cbranch_vccnz .LBB0_9
; %bb.7:                                ;   in Loop: Header=BB0_2 Depth=1
	v_mov_b32_e32 v5, v7
	v_mov_b32_e32 v6, v8
	s_branch .LBB0_2
.LBB0_8:
	v_mov_b32_e32 v8, v6
	v_mov_b32_e32 v7, v5
.LBB0_9:
	s_lshl_b64 s[0:1], s[10:11], 3
	v_mul_hi_u32 v3, 0x1681682, v0
	s_add_u32 s0, s12, s0
	s_addc_u32 s1, s13, s1
                                        ; implicit-def: $vgpr10_vgpr11
                                        ; implicit-def: $vgpr14_vgpr15
                                        ; implicit-def: $vgpr18_vgpr19
                                        ; implicit-def: $vgpr26_vgpr27
                                        ; implicit-def: $vgpr38_vgpr39
                                        ; implicit-def: $vgpr22_vgpr23
                                        ; implicit-def: $vgpr34_vgpr35
                                        ; implicit-def: $vgpr42_vgpr43
                                        ; implicit-def: $vgpr46_vgpr47
                                        ; implicit-def: $vgpr50_vgpr51
                                        ; implicit-def: $vgpr54_vgpr55
                                        ; implicit-def: $vgpr30_vgpr31
	s_load_dwordx2 s[0:1], s[0:1], 0x0
	s_load_dwordx2 s[4:5], s[4:5], 0x20
	v_mul_u32_u24_e32 v3, 0xb6, v3
	v_sub_nc_u32_e32 v74, v0, v3
	s_waitcnt lgkmcnt(0)
	v_mul_lo_u32 v4, s0, v8
	v_mul_lo_u32 v5, s1, v7
	v_mad_u64_u32 v[1:2], null, s0, v7, v[1:2]
	v_cmp_gt_u64_e32 vcc_lo, s[4:5], v[7:8]
	v_cmp_gt_u32_e64 s0, 0x7e, v74
                                        ; implicit-def: $vgpr6_vgpr7
	s_and_b32 s1, vcc_lo, s0
	v_add3_u32 v2, v5, v2, v4
	v_lshlrev_b64 v[72:73], 4, v[1:2]
	s_and_saveexec_b32 s4, s1
	s_cbranch_execz .LBB0_11
; %bb.10:
	v_mov_b32_e32 v75, 0
	v_add_co_u32 v2, s1, s2, v72
	v_add_co_ci_u32_e64 v3, s1, s3, v73, s1
	v_lshlrev_b64 v[0:1], 4, v[74:75]
	v_add_co_u32 v0, s1, v2, v0
	v_add_co_ci_u32_e64 v1, s1, v3, v1, s1
	s_clause 0x1
	global_load_dwordx4 v[4:7], v[0:1], off
	global_load_dwordx4 v[28:31], v[0:1], off offset:2016
	v_add_co_u32 v2, s1, 0x800, v0
	v_add_co_ci_u32_e64 v3, s1, 0, v1, s1
	v_add_co_u32 v8, s1, 0x1000, v0
	v_add_co_ci_u32_e64 v9, s1, 0, v1, s1
	;; [unrolled: 2-line block ×6, first 2 shown]
	s_clause 0x5
	global_load_dwordx4 v[52:55], v[2:3], off offset:1984
	global_load_dwordx4 v[48:51], v[8:9], off offset:1952
	global_load_dwordx4 v[44:47], v[10:11], off offset:1920
	global_load_dwordx4 v[40:43], v[12:13], off offset:1888
	global_load_dwordx4 v[32:35], v[14:15], off offset:1856
	global_load_dwordx4 v[20:23], v[16:17], off offset:1824
	v_add_co_u32 v2, s1, 0x3800, v0
	v_add_co_ci_u32_e64 v3, s1, 0, v1, s1
	v_add_co_u32 v8, s1, 0x4000, v0
	v_add_co_ci_u32_e64 v9, s1, 0, v1, s1
	;; [unrolled: 2-line block ×5, first 2 shown]
	s_clause 0x4
	global_load_dwordx4 v[36:39], v[2:3], off offset:1792
	global_load_dwordx4 v[24:27], v[8:9], off offset:1760
	;; [unrolled: 1-line block ×5, first 2 shown]
.LBB0_11:
	s_or_b32 exec_lo, exec_lo, s4
	s_waitcnt vmcnt(0)
	v_add_f64 v[56:57], v[30:31], -v[10:11]
	s_mov_b32 s14, 0x4267c47c
	s_mov_b32 s10, 0x42a4c3d2
	;; [unrolled: 1-line block ×10, first 2 shown]
	v_add_f64 v[58:59], v[8:9], v[28:29]
	v_add_f64 v[60:61], v[54:55], -v[14:15]
	s_mov_b32 s4, 0xe00740e9
	s_mov_b32 s6, 0x1ea71119
	;; [unrolled: 1-line block ×9, first 2 shown]
	v_mul_f64 v[66:67], v[56:57], s[14:15]
	v_mul_f64 v[68:69], v[56:57], s[10:11]
	;; [unrolled: 1-line block ×5, first 2 shown]
	s_mov_b32 s21, 0x3fbedb7d
	s_mov_b32 s37, 0xbfcea1e5
	;; [unrolled: 1-line block ×7, first 2 shown]
	v_add_f64 v[62:63], v[12:13], v[52:53]
	v_add_f64 v[64:65], v[50:51], -v[18:19]
	v_mul_f64 v[85:86], v[60:61], s[10:11]
	v_mul_f64 v[89:90], v[60:61], s[16:17]
	;; [unrolled: 1-line block ×5, first 2 shown]
	s_mov_b32 s28, 0x93053d00
	s_mov_b32 s29, 0xbfef11f4
	;; [unrolled: 1-line block ×3, first 2 shown]
	v_fma_f64 v[0:1], v[58:59], s[4:5], -v[66:67]
	v_fma_f64 v[2:3], v[58:59], s[6:7], -v[68:69]
	;; [unrolled: 1-line block ×5, first 2 shown]
	s_mov_b32 s39, 0x3fddbe06
	s_mov_b32 s30, s16
	;; [unrolled: 1-line block ×3, first 2 shown]
	v_add_f64 v[107:108], v[16:17], v[48:49]
	v_add_f64 v[81:82], v[46:47], -v[26:27]
	s_mov_b32 s41, 0x3fcea1e5
	s_mov_b32 s40, s36
	v_add_f64 v[123:124], v[24:25], v[44:45]
	v_mul_f64 v[99:100], v[64:65], s[12:13]
	v_mul_f64 v[101:102], v[64:65], s[36:37]
	;; [unrolled: 1-line block ×5, first 2 shown]
	v_fma_f64 v[113:114], v[62:63], s[6:7], -v[85:86]
	v_fma_f64 v[125:126], v[62:63], s[22:23], -v[89:90]
	;; [unrolled: 1-line block ×5, first 2 shown]
	v_add_f64 v[2:3], v[4:5], v[2:3]
	v_add_f64 v[75:76], v[4:5], v[75:76]
	;; [unrolled: 1-line block ×5, first 2 shown]
	v_add_f64 v[95:96], v[42:43], -v[38:39]
	v_add_f64 v[135:136], v[36:37], v[40:41]
	s_mov_b32 s43, 0x3fea55e2
	v_mul_f64 v[111:112], v[81:82], s[16:17]
	v_mul_f64 v[115:116], v[81:82], s[34:35]
	;; [unrolled: 1-line block ×5, first 2 shown]
	v_fma_f64 v[137:138], v[107:108], s[20:21], -v[99:100]
	v_fma_f64 v[139:140], v[107:108], s[28:29], -v[101:102]
	;; [unrolled: 1-line block ×5, first 2 shown]
	s_mov_b32 s42, s10
	v_add_f64 v[2:3], v[125:126], v[2:3]
	v_add_f64 v[75:76], v[127:128], v[75:76]
	;; [unrolled: 1-line block ×5, first 2 shown]
	v_add_f64 v[113:114], v[34:35], -v[22:23]
	v_mul_f64 v[125:126], v[95:96], s[26:27]
	v_mul_f64 v[127:128], v[95:96], s[18:19]
	;; [unrolled: 1-line block ×5, first 2 shown]
	v_fma_f64 v[149:150], v[123:124], s[22:23], -v[111:112]
	v_fma_f64 v[151:152], v[123:124], s[24:25], -v[115:116]
	v_fma_f64 v[153:154], v[123:124], s[4:5], -v[117:118]
	v_fma_f64 v[155:156], v[123:124], s[20:21], -v[119:120]
	v_fma_f64 v[157:158], v[123:124], s[28:29], -v[121:122]
	v_add_f64 v[2:3], v[139:140], v[2:3]
	v_add_f64 v[75:76], v[141:142], v[75:76]
	;; [unrolled: 1-line block ×6, first 2 shown]
	v_mul_f64 v[137:138], v[113:114], s[38:39]
	v_mul_f64 v[139:140], v[113:114], s[26:27]
	;; [unrolled: 1-line block ×5, first 2 shown]
	v_fma_f64 v[159:160], v[135:136], s[24:25], -v[125:126]
	v_fma_f64 v[161:162], v[135:136], s[20:21], -v[127:128]
	;; [unrolled: 1-line block ×5, first 2 shown]
	v_add_f64 v[2:3], v[151:152], v[2:3]
	v_add_f64 v[75:76], v[153:154], v[75:76]
	;; [unrolled: 1-line block ×5, first 2 shown]
	v_fma_f64 v[149:150], v[145:146], s[4:5], -v[137:138]
	v_fma_f64 v[151:152], v[145:146], s[24:25], -v[139:140]
	;; [unrolled: 1-line block ×5, first 2 shown]
	v_add_f64 v[2:3], v[161:162], v[2:3]
	v_add_f64 v[75:76], v[163:164], v[75:76]
	;; [unrolled: 1-line block ×10, first 2 shown]
	s_and_saveexec_b32 s1, s0
	s_cbranch_execz .LBB0_13
; %bb.12:
	v_add_f64 v[149:150], v[28:29], v[4:5]
	v_mul_f64 v[151:152], v[58:59], s[28:29]
	v_mul_f64 v[155:156], v[58:59], s[20:21]
	;; [unrolled: 1-line block ×12, first 2 shown]
	v_add_f64 v[149:150], v[52:53], v[149:150]
	v_fma_f64 v[171:172], v[56:57], s[40:41], v[151:152]
	v_fma_f64 v[56:57], v[56:57], s[36:37], v[151:152]
	v_add_f64 v[70:71], v[70:71], v[155:156]
	v_add_f64 v[68:69], v[68:69], v[157:158]
	v_add_f64 v[87:88], v[87:88], v[153:154]
	v_add_f64 v[83:84], v[83:84], v[159:160]
	v_add_f64 v[58:59], v[66:67], v[58:59]
	v_mul_f64 v[155:156], v[107:108], s[22:23]
	v_mul_f64 v[157:158], v[107:108], s[28:29]
	v_fma_f64 v[159:160], v[60:61], s[14:15], v[161:162]
	v_fma_f64 v[60:61], v[60:61], s[38:39], v[161:162]
	v_add_f64 v[91:92], v[91:92], v[167:168]
	v_add_f64 v[89:90], v[89:90], v[169:170]
	v_mul_f64 v[151:152], v[107:108], s[6:7]
	v_mul_f64 v[153:154], v[107:108], s[4:5]
	v_add_f64 v[97:98], v[97:98], v[163:164]
	v_add_f64 v[93:94], v[93:94], v[165:166]
	;; [unrolled: 1-line block ×3, first 2 shown]
	v_mul_f64 v[163:164], v[123:124], s[4:5]
	v_mul_f64 v[167:168], v[123:124], s[24:25]
	;; [unrolled: 1-line block ×3, first 2 shown]
	v_add_f64 v[149:150], v[48:49], v[149:150]
	v_add_f64 v[85:86], v[4:5], v[171:172]
	v_add_f64 v[56:57], v[4:5], v[56:57]
	v_add_f64 v[70:71], v[4:5], v[70:71]
	v_add_f64 v[68:69], v[4:5], v[68:69]
	v_add_f64 v[87:88], v[4:5], v[87:88]
	v_add_f64 v[83:84], v[4:5], v[83:84]
	v_add_f64 v[4:5], v[4:5], v[58:59]
	v_add_f64 v[103:104], v[103:104], v[155:156]
	v_add_f64 v[101:102], v[101:102], v[157:158]
	v_mul_f64 v[165:166], v[123:124], s[20:21]
	v_add_f64 v[109:110], v[109:110], v[151:152]
	v_add_f64 v[105:106], v[105:106], v[153:154]
	;; [unrolled: 1-line block ×12, first 2 shown]
	v_mul_f64 v[87:88], v[135:136], s[20:21]
	v_mul_f64 v[89:90], v[135:136], s[6:7]
	;; [unrolled: 1-line block ×5, first 2 shown]
	v_add_f64 v[119:120], v[119:120], v[165:166]
	v_mul_f64 v[62:63], v[135:136], s[24:25]
	v_add_f64 v[149:150], v[40:41], v[149:150]
	v_add_f64 v[68:69], v[101:102], v[68:69]
	;; [unrolled: 1-line block ×3, first 2 shown]
	v_mul_f64 v[101:102], v[145:146], s[24:25]
	v_mul_f64 v[109:110], v[145:146], s[20:21]
	v_add_f64 v[87:88], v[127:128], v[87:88]
	v_add_f64 v[89:90], v[129:130], v[89:90]
	;; [unrolled: 1-line block ×5, first 2 shown]
	v_mul_f64 v[149:150], v[107:108], s[24:25]
	v_mul_f64 v[107:108], v[107:108], s[20:21]
	v_add_f64 v[101:102], v[139:140], v[101:102]
	v_add_f64 v[58:59], v[20:21], v[66:67]
	v_mul_f64 v[66:67], v[123:124], s[6:7]
	v_fma_f64 v[169:170], v[64:65], s[34:35], v[149:150]
	v_fma_f64 v[64:65], v[64:65], s[26:27], v[149:150]
	v_mul_f64 v[123:124], v[123:124], s[22:23]
	v_add_f64 v[99:100], v[99:100], v[107:108]
	v_add_f64 v[58:59], v[36:37], v[58:59]
	v_fma_f64 v[107:108], v[81:82], s[10:11], v[66:67]
	v_fma_f64 v[66:67], v[81:82], s[42:43], v[66:67]
	v_add_f64 v[56:57], v[64:65], v[56:57]
	v_add_f64 v[64:65], v[103:104], v[70:71]
	;; [unrolled: 1-line block ×7, first 2 shown]
	v_mul_f64 v[99:100], v[145:146], s[4:5]
	v_mul_f64 v[103:104], v[145:146], s[6:7]
	;; [unrolled: 1-line block ×3, first 2 shown]
	v_fma_f64 v[121:122], v[95:96], s[30:31], v[91:92]
	v_fma_f64 v[91:92], v[95:96], s[16:17], v[91:92]
	v_add_f64 v[95:96], v[133:134], v[97:98]
	v_mul_f64 v[83:84], v[145:146], s[28:29]
	v_add_f64 v[58:59], v[24:25], v[58:59]
	v_add_f64 v[56:57], v[66:67], v[56:57]
	;; [unrolled: 1-line block ×11, first 2 shown]
	v_fma_f64 v[70:71], v[113:114], s[12:13], v[109:110]
	v_fma_f64 v[81:82], v[113:114], s[18:19], v[109:110]
	v_add_f64 v[83:84], v[143:144], v[83:84]
	v_add_f64 v[58:59], v[16:17], v[58:59]
	;; [unrolled: 1-line block ×17, first 2 shown]
	v_mad_u32_u24 v70, 0x68, v74, 0
	v_add_f64 v[58:59], v[8:9], v[58:59]
	ds_write2_b64 v70, v[79:80], v[77:78] offset0:8 offset1:9
	ds_write2_b64 v70, v[75:76], v[0:1] offset0:10 offset1:11
	;; [unrolled: 1-line block ×5, first 2 shown]
	ds_write2_b64 v70, v[58:59], v[4:5] offset1:1
	ds_write_b64 v70, v[2:3] offset:96
.LBB0_13:
	s_or_b32 exec_lo, exec_lo, s1
	v_lshl_add_u32 v149, v74, 3, 0
	s_waitcnt lgkmcnt(0)
	s_barrier
	buffer_gl0_inv
	v_cmp_gt_u32_e64 s1, 0x5b, v74
	v_add_nc_u32_e32 v4, 0x1800, v149
	v_add_nc_u32_e32 v5, 0xa00, v149
	v_add_nc_u32_e32 v56, 0x2400, v149
	ds_read2_b64 v[64:67], v149 offset1:182
	ds_read2_b64 v[60:63], v4 offset0:51 offset1:233
	ds_read2_b64 v[68:71], v5 offset0:44 offset1:226
	ds_read2_b64 v[56:59], v56 offset0:31 offset1:213
	s_and_saveexec_b32 s4, s1
	s_cbranch_execz .LBB0_15
; %bb.14:
	ds_read_b64 v[79:80], v149 offset:5824
	ds_read_b64 v[77:78], v149 offset:12376
.LBB0_15:
	s_or_b32 exec_lo, exec_lo, s4
	v_add_f64 v[28:29], v[28:29], -v[8:9]
	s_mov_b32 s30, 0x66966769
	s_mov_b32 s24, 0x24c2f84
	;; [unrolled: 1-line block ×8, first 2 shown]
	v_add_f64 v[4:5], v[10:11], v[30:31]
	v_add_f64 v[12:13], v[52:53], -v[12:13]
	s_mov_b32 s4, 0xe00740e9
	s_mov_b32 s10, 0xebaa3ed8
	;; [unrolled: 1-line block ×11, first 2 shown]
	v_mul_f64 v[85:86], v[28:29], s[12:13]
	v_mul_f64 v[87:88], v[28:29], s[30:31]
	;; [unrolled: 1-line block ×5, first 2 shown]
	s_mov_b32 s18, s30
	v_add_f64 v[89:90], v[14:15], v[54:55]
	v_add_f64 v[16:17], v[48:49], -v[16:17]
	s_mov_b32 s26, 0x93053d00
	s_mov_b32 s27, 0xbfef11f4
	v_mul_f64 v[103:104], v[12:13], s[12:13]
	v_mul_f64 v[105:106], v[12:13], s[16:17]
	;; [unrolled: 1-line block ×5, first 2 shown]
	s_mov_b32 s37, 0x3fedeba7
	s_mov_b32 s36, s16
	;; [unrolled: 1-line block ×3, first 2 shown]
	v_add_f64 v[93:94], v[18:19], v[50:51]
	v_add_f64 v[24:25], v[44:45], -v[24:25]
	v_add_f64 v[109:110], v[26:27], v[46:47]
	v_add_f64 v[40:41], v[40:41], -v[36:37]
	v_fma_f64 v[8:9], v[4:5], s[6:7], v[85:86]
	v_fma_f64 v[48:49], v[4:5], s[10:11], v[87:88]
	;; [unrolled: 1-line block ×5, first 2 shown]
	v_add_f64 v[36:37], v[38:39], v[42:43]
	s_waitcnt lgkmcnt(0)
	v_mul_f64 v[44:45], v[16:17], s[30:31]
	v_mul_f64 v[99:100], v[16:17], s[28:29]
	;; [unrolled: 1-line block ×5, first 2 shown]
	v_fma_f64 v[115:116], v[89:90], s[6:7], v[103:104]
	v_fma_f64 v[121:122], v[89:90], s[14:15], v[105:106]
	;; [unrolled: 1-line block ×5, first 2 shown]
	s_mov_b32 s37, 0x3fcea1e5
	s_mov_b32 s36, s28
	v_mul_f64 v[133:134], v[24:25], s[16:17]
	v_mul_f64 v[135:136], v[24:25], s[34:35]
	;; [unrolled: 1-line block ×3, first 2 shown]
	v_add_f64 v[8:9], v[6:7], v[8:9]
	v_add_f64 v[48:49], v[6:7], v[48:49]
	;; [unrolled: 1-line block ×5, first 2 shown]
	v_mul_f64 v[131:132], v[24:25], s[36:37]
	v_mul_f64 v[137:138], v[24:25], s[22:23]
	v_fma_f64 v[139:140], v[93:94], s[10:11], v[44:45]
	v_fma_f64 v[141:142], v[93:94], s[26:27], v[99:100]
	;; [unrolled: 1-line block ×5, first 2 shown]
	s_barrier
	buffer_gl0_inv
	v_fma_f64 v[150:151], v[109:110], s[14:15], v[133:134]
	v_fma_f64 v[152:153], v[109:110], s[20:21], v[135:136]
	;; [unrolled: 1-line block ×3, first 2 shown]
	v_add_f64 v[8:9], v[121:122], v[8:9]
	v_add_f64 v[48:49], v[123:124], v[48:49]
	;; [unrolled: 1-line block ×5, first 2 shown]
	v_add_f64 v[115:116], v[32:33], -v[20:21]
	v_mul_f64 v[20:21], v[40:41], s[24:25]
	v_mul_f64 v[32:33], v[40:41], s[18:19]
	;; [unrolled: 1-line block ×5, first 2 shown]
	v_fma_f64 v[156:157], v[109:110], s[26:27], v[131:132]
	v_fma_f64 v[158:159], v[109:110], s[4:5], v[137:138]
	s_mov_b32 s13, 0x3fea55e2
	v_add_f64 v[127:128], v[22:23], v[34:35]
	v_add_f64 v[8:9], v[141:142], v[8:9]
	;; [unrolled: 1-line block ×6, first 2 shown]
	v_mul_f64 v[139:140], v[115:116], s[24:25]
	v_mul_f64 v[141:142], v[115:116], s[16:17]
	v_mul_f64 v[145:146], v[115:116], s[28:29]
	v_mul_f64 v[147:148], v[115:116], s[22:23]
	v_mul_f64 v[143:144], v[115:116], s[12:13]
	v_fma_f64 v[160:161], v[36:37], s[20:21], v[20:21]
	v_fma_f64 v[162:163], v[36:37], s[10:11], v[32:33]
	;; [unrolled: 1-line block ×5, first 2 shown]
	v_add_f64 v[8:9], v[152:153], v[8:9]
	v_add_f64 v[48:49], v[158:159], v[48:49]
	;; [unrolled: 1-line block ×5, first 2 shown]
	v_fma_f64 v[150:151], v[127:128], s[20:21], v[139:140]
	v_fma_f64 v[152:153], v[127:128], s[14:15], v[141:142]
	v_fma_f64 v[154:155], v[127:128], s[26:27], v[145:146]
	v_fma_f64 v[156:157], v[127:128], s[4:5], v[147:148]
	v_fma_f64 v[158:159], v[127:128], s[6:7], v[143:144]
	v_add_f64 v[8:9], v[162:163], v[8:9]
	v_add_f64 v[162:163], v[164:165], v[48:49]
	;; [unrolled: 1-line block ×10, first 2 shown]
	s_and_saveexec_b32 s30, s0
	s_cbranch_execz .LBB0_17
; %bb.16:
	v_add_f64 v[30:31], v[30:31], v[6:7]
	v_mul_f64 v[150:151], v[4:5], s[14:15]
	v_mul_f64 v[152:153], v[4:5], s[20:21]
	;; [unrolled: 1-line block ×11, first 2 shown]
	v_add_f64 v[30:31], v[54:55], v[30:31]
	v_mul_f64 v[54:55], v[4:5], s[10:11]
	v_add_f64 v[30:31], v[50:51], v[30:31]
	v_mul_f64 v[50:51], v[4:5], s[6:7]
	v_add_f64 v[54:55], v[54:55], -v[87:88]
	v_add_f64 v[87:88], v[152:153], -v[95:96]
	v_mul_f64 v[95:96], v[93:94], s[14:15]
	v_mul_f64 v[152:153], v[109:110], s[10:11]
	v_add_f64 v[30:31], v[46:47], v[30:31]
	v_mul_f64 v[46:47], v[4:5], s[4:5]
	v_add_f64 v[50:51], v[50:51], -v[85:86]
	v_add_f64 v[85:86], v[150:151], -v[91:92]
	v_fma_f64 v[91:92], v[4:5], s[26:27], -v[28:29]
	v_fma_f64 v[4:5], v[4:5], s[26:27], v[28:29]
	v_add_f64 v[54:55], v[6:7], v[54:55]
	v_mul_f64 v[150:151], v[93:94], s[6:7]
	v_add_f64 v[87:88], v[6:7], v[87:88]
	v_add_f64 v[30:31], v[42:43], v[30:31]
	v_mul_f64 v[42:43], v[89:90], s[6:7]
	v_add_f64 v[46:47], v[46:47], -v[97:98]
	v_add_f64 v[50:51], v[6:7], v[50:51]
	v_mul_f64 v[97:98], v[93:94], s[4:5]
	v_add_f64 v[85:86], v[6:7], v[85:86]
	v_add_f64 v[4:5], v[6:7], v[4:5]
	;; [unrolled: 1-line block ×3, first 2 shown]
	v_mul_f64 v[30:31], v[93:94], s[10:11]
	v_mul_f64 v[34:35], v[93:94], s[26:27]
	v_add_f64 v[42:43], v[42:43], -v[103:104]
	v_add_f64 v[103:104], v[154:155], -v[105:106]
	;; [unrolled: 1-line block ×3, first 2 shown]
	v_add_f64 v[46:47], v[6:7], v[46:47]
	v_add_f64 v[107:108], v[158:159], -v[111:112]
	v_add_f64 v[111:112], v[160:161], -v[113:114]
	v_fma_f64 v[113:114], v[89:90], s[4:5], -v[12:13]
	v_fma_f64 v[12:13], v[89:90], s[4:5], v[12:13]
	v_add_f64 v[89:90], v[6:7], v[91:92]
	v_mul_f64 v[91:92], v[109:110], s[4:5]
	v_mul_f64 v[154:155], v[109:110], s[26:27]
	v_add_f64 v[6:7], v[22:23], v[28:29]
	v_mul_f64 v[22:23], v[109:110], s[14:15]
	v_mul_f64 v[28:29], v[109:110], s[20:21]
	v_add_f64 v[30:31], v[30:31], -v[44:45]
	v_add_f64 v[34:35], v[34:35], -v[99:100]
	;; [unrolled: 1-line block ×3, first 2 shown]
	v_add_f64 v[42:43], v[42:43], v[46:47]
	v_add_f64 v[46:47], v[103:104], v[50:51]
	;; [unrolled: 1-line block ×3, first 2 shown]
	v_add_f64 v[95:96], v[97:98], -v[119:120]
	v_add_f64 v[97:98], v[150:151], -v[117:118]
	v_add_f64 v[54:55], v[107:108], v[85:86]
	v_add_f64 v[85:86], v[111:112], v[87:88]
	v_fma_f64 v[99:100], v[93:94], s[20:21], -v[16:17]
	v_fma_f64 v[16:17], v[93:94], s[20:21], v[16:17]
	v_add_f64 v[87:88], v[113:114], v[89:90]
	v_add_f64 v[4:5], v[12:13], v[4:5]
	v_mul_f64 v[12:13], v[36:37], s[20:21]
	v_mul_f64 v[89:90], v[36:37], s[6:7]
	v_add_f64 v[91:92], v[91:92], -v[137:138]
	v_mul_f64 v[93:94], v[36:37], s[26:27]
	v_mul_f64 v[101:102], v[36:37], s[4:5]
	v_add_f64 v[6:7], v[38:39], v[6:7]
	v_mul_f64 v[38:39], v[36:37], s[10:11]
	v_add_f64 v[22:23], v[22:23], -v[133:134]
	v_add_f64 v[28:29], v[28:29], -v[135:136]
	;; [unrolled: 1-line block ×4, first 2 shown]
	v_add_f64 v[30:31], v[30:31], v[42:43]
	v_add_f64 v[34:35], v[34:35], v[46:47]
	;; [unrolled: 1-line block ×3, first 2 shown]
	v_fma_f64 v[107:108], v[109:110], s[6:7], -v[24:25]
	v_fma_f64 v[24:25], v[109:110], s[6:7], v[24:25]
	v_add_f64 v[44:45], v[95:96], v[54:55]
	v_add_f64 v[46:47], v[97:98], v[85:86]
	v_mul_f64 v[54:55], v[127:128], s[20:21]
	v_mul_f64 v[85:86], v[127:128], s[6:7]
	v_add_f64 v[50:51], v[99:100], v[87:88]
	v_add_f64 v[4:5], v[16:17], v[4:5]
	v_mul_f64 v[16:17], v[127:128], s[26:27]
	v_add_f64 v[12:13], v[12:13], -v[20:21]
	v_mul_f64 v[87:88], v[127:128], s[14:15]
	v_mul_f64 v[95:96], v[115:116], s[18:19]
	v_add_f64 v[6:7], v[26:27], v[6:7]
	v_mul_f64 v[26:27], v[127:128], s[4:5]
	v_add_f64 v[20:21], v[38:39], -v[32:33]
	v_add_f64 v[32:33], v[89:90], -v[121:122]
	;; [unrolled: 1-line block ×4, first 2 shown]
	v_add_f64 v[22:23], v[22:23], v[30:31]
	v_add_f64 v[28:29], v[28:29], v[34:35]
	;; [unrolled: 1-line block ×3, first 2 shown]
	v_fma_f64 v[93:94], v[36:37], s[14:15], -v[40:41]
	v_fma_f64 v[36:37], v[36:37], s[14:15], v[40:41]
	v_add_f64 v[34:35], v[103:104], v[44:45]
	v_add_f64 v[40:41], v[105:106], v[46:47]
	;; [unrolled: 1-line block ×4, first 2 shown]
	v_add_f64 v[16:17], v[16:17], -v[145:146]
	v_add_f64 v[24:25], v[54:55], -v[139:140]
	;; [unrolled: 1-line block ×3, first 2 shown]
	v_fma_f64 v[46:47], v[127:128], s[10:11], -v[95:96]
	v_fma_f64 v[50:51], v[127:128], s[10:11], v[95:96]
	v_add_f64 v[6:7], v[18:19], v[6:7]
	v_add_f64 v[18:19], v[26:27], -v[147:148]
	v_add_f64 v[26:27], v[85:86], -v[143:144]
	v_add_f64 v[12:13], v[12:13], v[22:23]
	v_add_f64 v[20:21], v[20:21], v[28:29]
	;; [unrolled: 1-line block ×16, first 2 shown]
	v_mad_u32_u24 v10, 0x60, v74, v149
	ds_write2_b64 v10, v[81:82], v[83:84] offset0:8 offset1:9
	ds_write2_b64 v10, v[52:53], v[48:49] offset0:10 offset1:11
	ds_write2_b64 v10, v[14:15], v[16:17] offset0:2 offset1:3
	ds_write2_b64 v10, v[18:19], v[20:21] offset0:4 offset1:5
	ds_write2_b64 v10, v[22:23], v[4:5] offset0:6 offset1:7
	ds_write2_b64 v10, v[6:7], v[12:13] offset1:1
	ds_write_b64 v10, v[8:9] offset:96
.LBB0_17:
	s_or_b32 exec_lo, exec_lo, s30
	v_add_nc_u32_e32 v4, 0x1800, v149
	v_add_nc_u32_e32 v5, 0xa00, v149
	v_add_nc_u32_e32 v6, 0x2400, v149
	s_waitcnt lgkmcnt(0)
	s_barrier
	buffer_gl0_inv
	ds_read2_b64 v[10:13], v149 offset1:182
	ds_read2_b64 v[18:21], v4 offset0:51 offset1:233
	ds_read2_b64 v[14:17], v5 offset0:44 offset1:226
	;; [unrolled: 1-line block ×3, first 2 shown]
	s_and_saveexec_b32 s0, s1
	s_cbranch_execz .LBB0_19
; %bb.18:
	ds_read_b64 v[81:82], v149 offset:5824
	ds_read_b64 v[83:84], v149 offset:12376
.LBB0_19:
	s_or_b32 exec_lo, exec_lo, s0
	v_and_b32_e32 v4, 0xff, v74
	v_add_nc_u32_e32 v86, 0xb6, v74
	v_mov_b32_e32 v5, 0x4ec5
	v_add_nc_u32_e32 v85, 0x16c, v74
	v_add_nc_u32_e32 v6, 0x222, v74
	v_mul_lo_u16 v46, 0x4f, v4
	v_mov_b32_e32 v28, 4
	v_mul_u32_u24_sdwa v4, v86, v5 dst_sel:DWORD dst_unused:UNUSED_PAD src0_sel:WORD_0 src1_sel:DWORD
	v_mul_u32_u24_sdwa v7, v85, v5 dst_sel:DWORD dst_unused:UNUSED_PAD src0_sel:WORD_0 src1_sel:DWORD
	;; [unrolled: 1-line block ×3, first 2 shown]
	v_lshrrev_b16 v97, 10, v46
	v_lshrrev_b32_e32 v98, 18, v4
	v_lshrrev_b32_e32 v99, 18, v7
	;; [unrolled: 1-line block ×3, first 2 shown]
	v_mul_lo_u16 v4, v97, 13
	v_mul_lo_u16 v7, v98, 13
	;; [unrolled: 1-line block ×4, first 2 shown]
	v_sub_nc_u16 v101, v74, v4
	v_add_nc_u32_e32 v4, 0x2d8, v74
	v_sub_nc_u16 v102, v86, v7
	v_sub_nc_u16 v103, v85, v26
	;; [unrolled: 1-line block ×3, first 2 shown]
	v_lshlrev_b32_sdwa v6, v28, v101 dst_sel:DWORD dst_unused:UNUSED_PAD src0_sel:DWORD src1_sel:BYTE_0
	v_mul_u32_u24_sdwa v5, v4, v5 dst_sel:DWORD dst_unused:UNUSED_PAD src0_sel:WORD_0 src1_sel:DWORD
	v_lshlrev_b32_sdwa v7, v28, v102 dst_sel:DWORD dst_unused:UNUSED_PAD src0_sel:DWORD src1_sel:WORD_0
	v_lshlrev_b32_sdwa v26, v28, v103 dst_sel:DWORD dst_unused:UNUSED_PAD src0_sel:DWORD src1_sel:WORD_0
	;; [unrolled: 1-line block ×3, first 2 shown]
	s_clause 0x3
	global_load_dwordx4 v[30:33], v6, s[8:9]
	global_load_dwordx4 v[34:37], v7, s[8:9]
	;; [unrolled: 1-line block ×4, first 2 shown]
	v_lshrrev_b32_e32 v105, 18, v5
	v_mul_lo_u16 v5, v105, 13
	v_sub_nc_u16 v47, v4, v5
	v_lshlrev_b32_sdwa v4, v28, v47 dst_sel:DWORD dst_unused:UNUSED_PAD src0_sel:DWORD src1_sel:WORD_0
	global_load_dwordx4 v[26:29], v4, s[8:9]
	s_waitcnt vmcnt(0) lgkmcnt(0)
	s_barrier
	buffer_gl0_inv
	v_mul_f64 v[4:5], v[18:19], v[32:33]
	v_mul_f64 v[6:7], v[20:21], v[36:37]
	;; [unrolled: 1-line block ×4, first 2 shown]
	v_fma_f64 v[4:5], v[60:61], v[30:31], v[4:5]
	v_fma_f64 v[6:7], v[62:63], v[34:35], v[6:7]
	v_mul_f64 v[87:88], v[83:84], v[28:29]
	v_fma_f64 v[50:51], v[56:57], v[38:39], v[50:51]
	v_fma_f64 v[54:55], v[58:59], v[42:43], v[54:55]
	v_add_f64 v[89:90], v[64:65], -v[4:5]
	v_add_f64 v[91:92], v[66:67], -v[6:7]
	v_fma_f64 v[4:5], v[77:78], v[26:27], v[87:88]
	v_add_f64 v[93:94], v[68:69], -v[50:51]
	v_add_f64 v[95:96], v[70:71], -v[54:55]
	v_mov_b32_e32 v7, 0xd0
	v_mov_b32_e32 v6, 3
	v_mul_u32_u24_e32 v54, 0xd0, v98
	v_mul_u32_u24_e32 v55, 0xd0, v99
	v_mul_lo_u16 v50, v105, 26
	v_mul_u32_u24_sdwa v7, v97, v7 dst_sel:DWORD dst_unused:UNUSED_PAD src0_sel:WORD_0 src1_sel:DWORD
	v_lshlrev_b32_sdwa v51, v6, v101 dst_sel:DWORD dst_unused:UNUSED_PAD src0_sel:DWORD src1_sel:BYTE_0
	v_lshlrev_b32_sdwa v97, v6, v103 dst_sel:DWORD dst_unused:UNUSED_PAD src0_sel:DWORD src1_sel:WORD_0
	v_lshlrev_b32_sdwa v98, v6, v104 dst_sel:DWORD dst_unused:UNUSED_PAD src0_sel:DWORD src1_sel:WORD_0
	v_add3_u32 v51, 0, v7, v51
	v_add3_u32 v55, 0, v55, v97
	v_fma_f64 v[87:88], v[64:65], 2.0, -v[89:90]
	v_fma_f64 v[65:66], v[66:67], 2.0, -v[91:92]
	v_add_f64 v[4:5], v[79:80], -v[4:5]
	v_fma_f64 v[67:68], v[68:69], 2.0, -v[93:94]
	v_fma_f64 v[69:70], v[70:71], 2.0, -v[95:96]
	v_mul_u32_u24_e32 v64, 0xd0, v100
	v_lshlrev_b32_sdwa v71, v6, v102 dst_sel:DWORD dst_unused:UNUSED_PAD src0_sel:DWORD src1_sel:WORD_0
	v_add3_u32 v64, 0, v64, v98
	v_add3_u32 v54, 0, v54, v71
	ds_write2_b64 v51, v[87:88], v[89:90] offset1:13
	ds_write2_b64 v54, v[65:66], v[91:92] offset1:13
	;; [unrolled: 1-line block ×4, first 2 shown]
	s_and_saveexec_b32 s0, s1
	s_cbranch_execz .LBB0_21
; %bb.20:
	v_fma_f64 v[65:66], v[79:80], 2.0, -v[4:5]
	v_lshlrev_b32_sdwa v7, v6, v47 dst_sel:DWORD dst_unused:UNUSED_PAD src0_sel:DWORD src1_sel:WORD_0
	v_lshlrev_b32_sdwa v6, v6, v50 dst_sel:DWORD dst_unused:UNUSED_PAD src0_sel:DWORD src1_sel:WORD_0
	v_add3_u32 v6, 0, v7, v6
	ds_write2_b64 v6, v[65:66], v[4:5] offset1:13
.LBB0_21:
	s_or_b32 exec_lo, exec_lo, s0
	v_mul_f64 v[6:7], v[60:61], v[32:33]
	v_mul_f64 v[32:33], v[62:63], v[36:37]
	v_mul_f64 v[36:37], v[56:57], v[40:41]
	v_mul_f64 v[40:41], v[58:59], v[44:45]
	s_waitcnt lgkmcnt(0)
	s_barrier
	buffer_gl0_inv
	v_fma_f64 v[6:7], v[18:19], v[30:31], -v[6:7]
	v_fma_f64 v[18:19], v[20:21], v[34:35], -v[32:33]
	v_fma_f64 v[20:21], v[22:23], v[38:39], -v[36:37]
	v_fma_f64 v[22:23], v[24:25], v[42:43], -v[40:41]
	v_mul_f64 v[24:25], v[77:78], v[28:29]
	v_add_nc_u32_e32 v35, 0x2000, v149
	v_add_nc_u32_e32 v34, 0xa00, v149
	;; [unrolled: 1-line block ×3, first 2 shown]
	v_add_f64 v[37:38], v[10:11], -v[6:7]
	v_add_f64 v[39:40], v[12:13], -v[18:19]
	v_add_f64 v[41:42], v[14:15], -v[20:21]
	v_add_f64 v[43:44], v[16:17], -v[22:23]
	v_fma_f64 v[26:27], v[83:84], v[26:27], -v[24:25]
	ds_read2_b64 v[18:21], v149 offset1:182
	ds_read_b64 v[6:7], v149 offset:11648
	ds_read2_b64 v[22:25], v34 offset0:44 offset1:226
	v_fma_f64 v[56:57], v[10:11], 2.0, -v[37:38]
	v_fma_f64 v[12:13], v[12:13], 2.0, -v[39:40]
	;; [unrolled: 1-line block ×4, first 2 shown]
	v_add_f64 v[10:11], v[81:82], -v[26:27]
	ds_read2_b64 v[30:33], v35 offset0:68 offset1:250
	ds_read2_b64 v[26:29], v36 offset0:24 offset1:206
	s_waitcnt lgkmcnt(0)
	s_barrier
	buffer_gl0_inv
	ds_write2_b64 v51, v[56:57], v[37:38] offset1:13
	ds_write2_b64 v54, v[12:13], v[39:40] offset1:13
	;; [unrolled: 1-line block ×4, first 2 shown]
	s_and_saveexec_b32 s0, s1
	s_cbranch_execz .LBB0_23
; %bb.22:
	v_fma_f64 v[12:13], v[81:82], 2.0, -v[10:11]
	v_mov_b32_e32 v14, 3
	v_lshlrev_b32_sdwa v15, v14, v47 dst_sel:DWORD dst_unused:UNUSED_PAD src0_sel:DWORD src1_sel:WORD_0
	v_lshlrev_b32_sdwa v14, v14, v50 dst_sel:DWORD dst_unused:UNUSED_PAD src0_sel:DWORD src1_sel:WORD_0
	v_add3_u32 v14, 0, v15, v14
	ds_write2_b64 v14, v[12:13], v[10:11] offset1:13
.LBB0_23:
	s_or_b32 exec_lo, exec_lo, s0
	v_mov_b32_e32 v12, 0x4ec5
	v_lshrrev_b16 v47, 11, v46
	v_mov_b32_e32 v14, 5
	s_waitcnt lgkmcnt(0)
	s_barrier
	v_mul_u32_u24_sdwa v13, v86, v12 dst_sel:DWORD dst_unused:UNUSED_PAD src0_sel:WORD_0 src1_sel:DWORD
	v_mul_u32_u24_sdwa v12, v85, v12 dst_sel:DWORD dst_unused:UNUSED_PAD src0_sel:WORD_0 src1_sel:DWORD
	buffer_gl0_inv
	s_mov_b32 s4, 0xe8584caa
	s_mov_b32 s5, 0xbfebb67a
	v_lshrrev_b32_e32 v97, 19, v13
	v_lshrrev_b32_e32 v98, 19, v12
	v_mul_lo_u16 v12, v47, 26
	s_mov_b32 s7, 0x3febb67a
	s_mov_b32 s6, s4
	v_mul_lo_u16 v13, v97, 26
	v_mul_lo_u16 v15, v98, 26
	v_sub_nc_u16 v99, v74, v12
	v_cmp_gt_u32_e64 s0, 52, v74
	v_sub_nc_u16 v100, v86, v13
	v_sub_nc_u16 v101, v85, v15
	v_lshlrev_b32_sdwa v12, v14, v99 dst_sel:DWORD dst_unused:UNUSED_PAD src0_sel:DWORD src1_sel:BYTE_0
	v_lshlrev_b32_sdwa v13, v14, v100 dst_sel:DWORD dst_unused:UNUSED_PAD src0_sel:DWORD src1_sel:WORD_0
	v_lshlrev_b32_sdwa v14, v14, v101 dst_sel:DWORD dst_unused:UNUSED_PAD src0_sel:DWORD src1_sel:WORD_0
	s_clause 0x5
	global_load_dwordx4 v[37:40], v12, s[8:9] offset:208
	global_load_dwordx4 v[54:57], v12, s[8:9] offset:224
	;; [unrolled: 1-line block ×6, first 2 shown]
	ds_read2_b64 v[12:15], v34 offset0:44 offset1:226
	ds_read2_b64 v[87:90], v35 offset0:68 offset1:250
	ds_read2_b64 v[91:94], v36 offset0:24 offset1:206
	ds_read_b64 v[16:17], v149 offset:11648
	s_waitcnt vmcnt(5) lgkmcnt(3)
	v_mul_f64 v[34:35], v[14:15], v[39:40]
	s_waitcnt vmcnt(4) lgkmcnt(2)
	v_mul_f64 v[41:42], v[87:88], v[56:57]
	;; [unrolled: 2-line block ×3, first 2 shown]
	s_waitcnt vmcnt(2)
	v_mul_f64 v[45:46], v[89:90], v[68:69]
	s_waitcnt vmcnt(1)
	v_mul_f64 v[50:51], v[93:94], v[79:80]
	s_waitcnt vmcnt(0) lgkmcnt(0)
	v_mul_f64 v[60:61], v[16:17], v[83:84]
	v_mul_f64 v[70:71], v[24:25], v[39:40]
	;; [unrolled: 1-line block ×7, first 2 shown]
	v_fma_f64 v[56:57], v[24:25], v[37:38], v[34:35]
	v_fma_f64 v[58:59], v[30:31], v[54:55], v[41:42]
	;; [unrolled: 1-line block ×6, first 2 shown]
	v_fma_f64 v[60:61], v[14:15], v[37:38], -v[70:71]
	v_fma_f64 v[38:39], v[87:88], v[54:55], -v[95:96]
	;; [unrolled: 1-line block ×6, first 2 shown]
	v_mul_u32_u24_e32 v54, 0x270, v98
	v_add_nc_u32_e32 v68, 0xe00, v149
	v_add_nc_u32_e32 v69, 0x1d00, v149
	v_add_f64 v[26:27], v[18:19], v[56:57]
	v_add_f64 v[6:7], v[56:57], v[58:59]
	;; [unrolled: 1-line block ×6, first 2 shown]
	v_add_f64 v[28:29], v[60:61], -v[38:39]
	v_add_f64 v[26:27], v[26:27], v[58:59]
	v_fma_f64 v[6:7], v[6:7], -0.5, v[18:19]
	v_add_f64 v[18:19], v[62:63], -v[50:51]
	v_fma_f64 v[14:15], v[14:15], -0.5, v[20:21]
	v_add_f64 v[20:21], v[64:65], -v[66:67]
	v_fma_f64 v[16:17], v[16:17], -0.5, v[22:23]
	v_add_f64 v[30:31], v[30:31], v[44:45]
	v_add_f64 v[32:33], v[32:33], v[42:43]
	v_mov_b32_e32 v22, 0x270
	v_mov_b32_e32 v23, 3
	v_mul_u32_u24_sdwa v22, v47, v22 dst_sel:DWORD dst_unused:UNUSED_PAD src0_sel:WORD_0 src1_sel:DWORD
	v_lshlrev_b32_sdwa v46, v23, v99 dst_sel:DWORD dst_unused:UNUSED_PAD src0_sel:DWORD src1_sel:BYTE_0
	v_mul_u32_u24_e32 v47, 0x270, v97
	v_lshlrev_b32_sdwa v55, v23, v100 dst_sel:DWORD dst_unused:UNUSED_PAD src0_sel:DWORD src1_sel:WORD_0
	v_add3_u32 v22, 0, v22, v46
	v_lshlrev_b32_sdwa v46, v23, v101 dst_sel:DWORD dst_unused:UNUSED_PAD src0_sel:DWORD src1_sel:WORD_0
	v_add3_u32 v23, 0, v47, v55
	v_fma_f64 v[34:35], v[28:29], s[4:5], v[6:7]
	v_fma_f64 v[6:7], v[28:29], s[6:7], v[6:7]
	;; [unrolled: 1-line block ×6, first 2 shown]
	v_add3_u32 v70, 0, v54, v46
	ds_read2_b64 v[14:17], v149 offset1:182
	s_waitcnt lgkmcnt(0)
	s_barrier
	buffer_gl0_inv
                                        ; implicit-def: $vgpr46_vgpr47
	ds_write2_b64 v22, v[26:27], v[34:35] offset1:26
	ds_write_b64 v22, v[6:7] offset:416
	ds_write2_b64 v23, v[30:31], v[28:29] offset1:26
	ds_write_b64 v23, v[36:37] offset:416
	;; [unrolled: 2-line block ×3, first 2 shown]
	s_waitcnt lgkmcnt(0)
	s_barrier
	buffer_gl0_inv
	ds_read2_b64 v[26:29], v149 offset1:234
	ds_read2_b64 v[34:37], v68 offset0:20 offset1:254
	ds_read2_b64 v[30:33], v69 offset0:8 offset1:242
	ds_read_b64 v[54:55], v149 offset:11232
	s_and_saveexec_b32 s1, s0
	s_cbranch_execz .LBB0_25
; %bb.24:
	v_add_nc_u32_e32 v0, 0x2280, v149
	v_add_nc_u32_e32 v4, 0x1400, v149
	;; [unrolled: 1-line block ×3, first 2 shown]
	ds_read2_b64 v[0:3], v0 offset0:14 offset1:248
	ds_read2_b64 v[4:7], v4 offset0:10 offset1:244
	ds_read_b64 v[46:47], v149 offset:12688
	ds_read2_b64 v[18:21], v18 offset0:6 offset1:240
	s_waitcnt lgkmcnt(2)
	v_mov_b32_e32 v76, v7
	v_mov_b32_e32 v75, v6
.LBB0_25:
	s_or_b32 exec_lo, exec_lo, s1
	v_add_f64 v[6:7], v[60:61], v[38:39]
	v_add_f64 v[77:78], v[62:63], v[50:51]
	;; [unrolled: 1-line block ×4, first 2 shown]
	v_add_f64 v[56:57], v[56:57], -v[58:59]
	v_add_f64 v[58:59], v[16:17], v[62:63]
	v_add_f64 v[62:63], v[12:13], v[64:65]
	v_add_f64 v[24:25], v[24:25], -v[42:43]
	s_waitcnt lgkmcnt(0)
	s_barrier
	buffer_gl0_inv
	v_fma_f64 v[6:7], v[6:7], -0.5, v[14:15]
	v_add_f64 v[14:15], v[40:41], -v[44:45]
	v_fma_f64 v[16:17], v[77:78], -0.5, v[16:17]
	v_fma_f64 v[12:13], v[79:80], -0.5, v[12:13]
	v_add_f64 v[38:39], v[60:61], v[38:39]
	v_add_f64 v[40:41], v[58:59], v[50:51]
	;; [unrolled: 1-line block ×3, first 2 shown]
	v_fma_f64 v[44:45], v[56:57], s[6:7], v[6:7]
	v_fma_f64 v[6:7], v[56:57], s[4:5], v[6:7]
	;; [unrolled: 1-line block ×6, first 2 shown]
	ds_write2_b64 v22, v[38:39], v[44:45] offset1:26
	ds_write_b64 v22, v[6:7] offset:416
	ds_write2_b64 v23, v[40:41], v[50:51] offset1:26
	ds_write_b64 v23, v[56:57] offset:416
	;; [unrolled: 2-line block ×3, first 2 shown]
	s_waitcnt lgkmcnt(0)
	s_barrier
	buffer_gl0_inv
	ds_read2_b64 v[22:25], v149 offset1:234
	ds_read2_b64 v[42:45], v68 offset0:20 offset1:254
	ds_read2_b64 v[38:41], v69 offset0:8 offset1:242
	ds_read_b64 v[56:57], v149 offset:11232
                                        ; implicit-def: $vgpr50_vgpr51
	s_and_saveexec_b32 s1, s0
	s_cbranch_execz .LBB0_27
; %bb.26:
	v_add_nc_u32_e32 v6, 0x2280, v149
	v_add_nc_u32_e32 v10, 0x1400, v149
	v_add_nc_u32_e32 v14, 0x580, v149
	ds_read2_b64 v[6:9], v6 offset0:14 offset1:248
	ds_read2_b64 v[10:13], v10 offset0:10 offset1:244
	ds_read_b64 v[50:51], v149 offset:12688
	ds_read2_b64 v[14:17], v14 offset0:6 offset1:240
	s_waitcnt lgkmcnt(3)
	v_mov_b32_e32 v49, v7
	s_waitcnt lgkmcnt(2)
	v_mov_b32_e32 v53, v13
	v_mov_b32_e32 v48, v6
	v_mov_b32_e32 v52, v12
.LBB0_27:
	s_or_b32 exec_lo, exec_lo, s1
	v_lshrrev_b16 v6, 1, v74
	v_mov_b32_e32 v7, 6
	s_mov_b32 s4, 0x37e14327
	s_mov_b32 s10, 0xe976ee23
	;; [unrolled: 1-line block ×3, first 2 shown]
	v_and_b32_e32 v6, 0x7f, v6
	s_mov_b32 s11, 0x3fe11646
	s_mov_b32 s6, 0x429ad128
	s_mov_b32 s12, 0x36b3c0b5
	s_mov_b32 s7, 0xbfebfeb5
	v_mul_lo_u16 v6, 0xd3, v6
	s_mov_b32 s13, 0x3fac98ee
	s_mov_b32 s14, 0xaaaaaaaa
	;; [unrolled: 1-line block ×4, first 2 shown]
	v_lshrrev_b16 v121, 13, v6
	s_mov_b32 s16, 0x5476071b
	s_mov_b32 s21, 0xbfd5d0dc
	;; [unrolled: 1-line block ×4, first 2 shown]
	v_mul_lo_u16 v6, 0x4e, v121
	s_mov_b32 s23, 0x3fd5d0dc
	s_mov_b32 s18, s16
	;; [unrolled: 1-line block ×4, first 2 shown]
	v_sub_nc_u16 v122, v74, v6
	s_mov_b32 s25, 0xbfdc38aa
	v_mov_b32_e32 v124, 0x1110
	v_mul_u32_u24_sdwa v6, v122, v7 dst_sel:DWORD dst_unused:UNUSED_PAD src0_sel:BYTE_0 src1_sel:DWORD
	v_mov_b32_e32 v7, 0x6907
	v_lshlrev_b32_e32 v6, 4, v6
	s_clause 0x5
	global_load_dwordx4 v[58:61], v6, s[8:9] offset:1040
	global_load_dwordx4 v[62:65], v6, s[8:9] offset:1056
	;; [unrolled: 1-line block ×6, first 2 shown]
	v_lshrrev_b16 v6, 1, v86
	v_mul_u32_u24_sdwa v6, v6, v7 dst_sel:DWORD dst_unused:UNUSED_PAD src0_sel:WORD_0 src1_sel:DWORD
	v_lshrrev_b32_e32 v6, 20, v6
	v_mul_lo_u16 v6, 0x4e, v6
	v_sub_nc_u16 v6, v86, v6
	v_and_b32_e32 v123, 0xffff, v6
	v_mul_u32_u24_e32 v6, 6, v123
	v_lshlrev_b32_e32 v6, 4, v6
	s_clause 0x5
	global_load_dwordx4 v[91:94], v6, s[8:9] offset:1040
	global_load_dwordx4 v[95:98], v6, s[8:9] offset:1056
	;; [unrolled: 1-line block ×6, first 2 shown]
	s_waitcnt vmcnt(0) lgkmcnt(0)
	s_barrier
	buffer_gl0_inv
	v_mul_f64 v[6:7], v[24:25], v[60:61]
	v_mul_f64 v[12:13], v[42:43], v[64:65]
	;; [unrolled: 1-line block ×12, first 2 shown]
	v_fma_f64 v[6:7], v[28:29], v[58:59], v[6:7]
	v_fma_f64 v[28:29], v[34:35], v[62:63], v[12:13]
	;; [unrolled: 1-line block ×4, first 2 shown]
	v_fma_f64 v[24:25], v[24:25], v[58:59], -v[60:61]
	v_fma_f64 v[42:43], v[42:43], v[62:63], -v[64:65]
	v_fma_f64 v[32:33], v[36:37], v[81:82], v[117:118]
	v_fma_f64 v[36:37], v[44:45], v[81:82], -v[83:84]
	v_fma_f64 v[30:31], v[30:31], v[87:88], v[119:120]
	v_fma_f64 v[40:41], v[40:41], v[77:78], -v[79:80]
	v_fma_f64 v[38:39], v[38:39], v[87:88], -v[89:90]
	;; [unrolled: 1-line block ×3, first 2 shown]
	v_mul_f64 v[83:84], v[52:53], v[101:102]
	v_mul_f64 v[87:88], v[75:76], v[101:102]
	;; [unrolled: 1-line block ×3, first 2 shown]
	v_add_f64 v[54:55], v[6:7], v[12:13]
	v_add_f64 v[56:57], v[28:29], v[34:35]
	v_mul_f64 v[101:102], v[2:3], v[109:110]
	v_add_f64 v[60:61], v[32:33], v[30:31]
	v_add_f64 v[58:59], v[42:43], -v[40:41]
	v_add_f64 v[62:63], v[38:39], -v[36:37]
	;; [unrolled: 1-line block ×3, first 2 shown]
	v_add_f64 v[66:67], v[56:57], v[54:55]
	v_add_f64 v[68:69], v[54:55], -v[60:61]
	v_add_f64 v[70:71], v[62:63], -v[58:59]
	;; [unrolled: 1-line block ×3, first 2 shown]
	v_add_f64 v[58:59], v[62:63], v[58:59]
	v_add_f64 v[62:63], v[64:65], -v[62:63]
	v_add_f64 v[66:67], v[60:61], v[66:67]
	v_add_f64 v[60:61], v[60:61], -v[56:57]
	v_mul_f64 v[68:69], v[68:69], s[4:5]
	v_mul_f64 v[70:71], v[70:71], s[10:11]
	;; [unrolled: 1-line block ×3, first 2 shown]
	v_add_f64 v[81:82], v[26:27], v[66:67]
	v_add_f64 v[26:27], v[56:57], -v[54:55]
	v_mul_f64 v[54:55], v[60:61], s[12:13]
	v_add_f64 v[56:57], v[58:59], v[64:65]
	v_fma_f64 v[58:59], v[60:61], s[12:13], v[68:69]
	v_fma_f64 v[60:61], v[62:63], s[20:21], v[70:71]
	v_fma_f64 v[64:65], v[77:78], s[6:7], -v[70:71]
	v_fma_f64 v[62:63], v[62:63], s[22:23], -v[79:80]
	v_mul_f64 v[70:71], v[20:21], v[93:94]
	v_mul_f64 v[77:78], v[10:11], v[97:98]
	v_mul_f64 v[79:80], v[4:5], v[97:98]
	v_mul_f64 v[97:98], v[8:9], v[109:110]
	v_mul_f64 v[109:110], v[46:47], v[113:114]
	v_fma_f64 v[66:67], v[66:67], s[14:15], v[81:82]
	v_fma_f64 v[68:69], v[26:27], s[18:19], -v[68:69]
	v_fma_f64 v[26:27], v[26:27], s[16:17], -v[54:55]
	v_mul_f64 v[54:55], v[16:17], v[93:94]
	v_mul_f64 v[93:94], v[0:1], v[105:106]
	;; [unrolled: 1-line block ×3, first 2 shown]
	v_fma_f64 v[113:114], v[56:57], s[24:25], v[60:61]
	v_fma_f64 v[115:116], v[56:57], s[24:25], v[64:65]
	;; [unrolled: 1-line block ×3, first 2 shown]
	v_fma_f64 v[56:57], v[16:17], v[91:92], -v[70:71]
	v_fma_f64 v[60:61], v[52:53], v[99:100], -v[87:88]
	v_fma_f64 v[52:53], v[0:1], v[103:104], v[89:90]
	v_fma_f64 v[62:63], v[2:3], v[107:108], v[97:98]
	v_fma_f64 v[64:65], v[8:9], v[107:108], -v[101:102]
	v_fma_f64 v[50:51], v[50:51], v[111:112], -v[109:110]
	v_add_f64 v[119:120], v[58:59], v[66:67]
	v_add_f64 v[68:69], v[68:69], v[66:67]
	;; [unrolled: 1-line block ×3, first 2 shown]
	v_fma_f64 v[20:21], v[20:21], v[91:92], v[54:55]
	v_fma_f64 v[26:27], v[4:5], v[95:96], v[77:78]
	v_fma_f64 v[58:59], v[10:11], v[95:96], -v[79:80]
	v_fma_f64 v[54:55], v[75:76], v[99:100], v[83:84]
	v_fma_f64 v[48:49], v[48:49], v[103:104], -v[93:94]
	v_fma_f64 v[46:47], v[46:47], v[111:112], v[105:106]
	v_add_f64 v[0:1], v[113:114], v[119:120]
	v_add_f64 v[2:3], v[117:118], v[68:69]
	v_add_f64 v[4:5], v[66:67], -v[115:116]
	v_add_f64 v[8:9], v[115:116], v[66:67]
	v_add_f64 v[10:11], v[68:69], -v[117:118]
	v_mov_b32_e32 v66, 3
	v_add_f64 v[16:17], v[119:120], -v[113:114]
	v_mul_u32_u24_sdwa v67, v121, v124 dst_sel:DWORD dst_unused:UNUSED_PAD src0_sel:WORD_0 src1_sel:DWORD
	v_lshlrev_b32_sdwa v66, v66, v122 dst_sel:DWORD dst_unused:UNUSED_PAD src0_sel:DWORD src1_sel:BYTE_0
	v_add3_u32 v67, 0, v67, v66
	v_lshl_add_u32 v66, v123, 3, 0
	v_add_nc_u32_e32 v68, 0x800, v67
	ds_write2_b64 v67, v[81:82], v[0:1] offset1:78
	ds_write2_b64 v67, v[2:3], v[4:5] offset0:156 offset1:234
	ds_write2_b64 v68, v[8:9], v[10:11] offset0:56 offset1:134
	ds_write_b64 v67, v[16:17] offset:3744
	s_and_saveexec_b32 s1, s0
	s_cbranch_execz .LBB0_29
; %bb.28:
	v_add_f64 v[0:1], v[26:27], v[62:63]
	v_add_f64 v[2:3], v[20:21], v[46:47]
	v_add_f64 v[4:5], v[48:49], -v[60:61]
	v_add_f64 v[8:9], v[58:59], -v[64:65]
	v_add_f64 v[10:11], v[54:55], v[52:53]
	v_add_f64 v[16:17], v[56:57], -v[50:51]
	v_add_f64 v[69:70], v[0:1], v[2:3]
	v_add_f64 v[75:76], v[4:5], -v[8:9]
	v_add_f64 v[77:78], v[2:3], -v[10:11]
	;; [unrolled: 1-line block ×3, first 2 shown]
	v_add_f64 v[8:9], v[4:5], v[8:9]
	v_add_f64 v[4:5], v[16:17], -v[4:5]
	v_add_f64 v[69:70], v[10:11], v[69:70]
	v_add_f64 v[10:11], v[10:11], -v[0:1]
	v_add_f64 v[0:1], v[0:1], -v[2:3]
	v_mul_f64 v[2:3], v[75:76], s[10:11]
	v_mul_f64 v[75:76], v[77:78], s[4:5]
	;; [unrolled: 1-line block ×3, first 2 shown]
	v_add_f64 v[8:9], v[8:9], v[16:17]
	v_add_f64 v[18:19], v[18:19], v[69:70]
	v_mul_f64 v[81:82], v[10:11], s[12:13]
	v_fma_f64 v[16:17], v[4:5], s[20:21], v[2:3]
	v_fma_f64 v[10:11], v[10:11], s[12:13], v[75:76]
	v_fma_f64 v[83:84], v[0:1], s[18:19], -v[75:76]
	v_fma_f64 v[4:5], v[4:5], s[22:23], -v[77:78]
	;; [unrolled: 1-line block ×3, first 2 shown]
	v_fma_f64 v[69:70], v[69:70], s[14:15], v[18:19]
	v_fma_f64 v[0:1], v[0:1], s[16:17], -v[81:82]
	v_fma_f64 v[16:17], v[8:9], s[24:25], v[16:17]
	v_fma_f64 v[4:5], v[8:9], s[24:25], v[4:5]
	;; [unrolled: 1-line block ×3, first 2 shown]
	v_add_f64 v[10:11], v[10:11], v[69:70]
	v_add_f64 v[8:9], v[83:84], v[69:70]
	;; [unrolled: 1-line block ×4, first 2 shown]
	v_add_f64 v[69:70], v[8:9], -v[4:5]
	v_add_f64 v[75:76], v[0:1], -v[2:3]
	v_add_f64 v[4:5], v[4:5], v[8:9]
	v_add_f64 v[0:1], v[2:3], v[0:1]
	v_add_f64 v[2:3], v[10:11], -v[16:17]
	v_add_nc_u32_e32 v8, 0x2000, v66
	v_add_nc_u32_e32 v9, 0x2400, v66
	;; [unrolled: 1-line block ×3, first 2 shown]
	ds_write2_b64 v8, v[18:19], v[77:78] offset0:68 offset1:146
	ds_write2_b64 v9, v[4:5], v[75:76] offset0:96 offset1:174
	;; [unrolled: 1-line block ×3, first 2 shown]
	ds_write_b64 v66, v[2:3] offset:12480
.LBB0_29:
	s_or_b32 exec_lo, exec_lo, s1
	v_add_f64 v[0:1], v[24:25], v[44:45]
	v_add_f64 v[2:3], v[42:43], v[40:41]
	v_add_f64 v[4:5], v[28:29], -v[34:35]
	v_add_f64 v[8:9], v[36:37], v[38:39]
	v_add_f64 v[10:11], v[30:31], -v[32:33]
	v_add_f64 v[6:7], v[6:7], -v[12:13]
	v_add_nc_u32_e32 v38, 0xa00, v149
	v_add_nc_u32_e32 v39, 0x2000, v149
	;; [unrolled: 1-line block ×3, first 2 shown]
	s_waitcnt lgkmcnt(0)
	s_barrier
	buffer_gl0_inv
	v_add_f64 v[12:13], v[2:3], v[0:1]
	v_add_f64 v[16:17], v[0:1], -v[8:9]
	v_add_f64 v[18:19], v[10:11], -v[4:5]
	;; [unrolled: 1-line block ×3, first 2 shown]
	v_add_f64 v[4:5], v[10:11], v[4:5]
	v_add_f64 v[10:11], v[6:7], -v[10:11]
	v_add_f64 v[0:1], v[2:3], -v[0:1]
	v_add_f64 v[12:13], v[8:9], v[12:13]
	v_add_f64 v[8:9], v[8:9], -v[2:3]
	v_mul_f64 v[16:17], v[16:17], s[4:5]
	v_mul_f64 v[18:19], v[18:19], s[10:11]
	v_mul_f64 v[28:29], v[24:25], s[6:7]
	v_add_f64 v[4:5], v[4:5], v[6:7]
	v_add_f64 v[22:23], v[22:23], v[12:13]
	v_mul_f64 v[2:3], v[8:9], s[12:13]
	v_fma_f64 v[6:7], v[8:9], s[12:13], v[16:17]
	v_fma_f64 v[8:9], v[10:11], s[20:21], v[18:19]
	v_fma_f64 v[18:19], v[24:25], s[6:7], -v[18:19]
	v_fma_f64 v[10:11], v[10:11], s[22:23], -v[28:29]
	v_fma_f64 v[16:17], v[0:1], s[18:19], -v[16:17]
	v_fma_f64 v[12:13], v[12:13], s[14:15], v[22:23]
	v_fma_f64 v[0:1], v[0:1], s[16:17], -v[2:3]
	v_fma_f64 v[8:9], v[4:5], s[24:25], v[8:9]
	v_fma_f64 v[18:19], v[4:5], s[24:25], v[18:19]
	;; [unrolled: 1-line block ×3, first 2 shown]
	v_add_f64 v[6:7], v[6:7], v[12:13]
	v_add_f64 v[10:11], v[16:17], v[12:13]
	;; [unrolled: 1-line block ×3, first 2 shown]
	ds_read2_b64 v[0:3], v149 offset1:182
	ds_read_b64 v[12:13], v149 offset:11648
	v_add_f64 v[24:25], v[6:7], -v[8:9]
	v_add_f64 v[28:29], v[10:11], -v[4:5]
	v_add_f64 v[30:31], v[18:19], v[16:17]
	v_add_f64 v[32:33], v[16:17], -v[18:19]
	v_add_f64 v[34:35], v[4:5], v[10:11]
	v_add_f64 v[36:37], v[8:9], v[6:7]
	ds_read2_b64 v[4:7], v38 offset0:44 offset1:226
	ds_read2_b64 v[8:11], v39 offset0:68 offset1:250
	;; [unrolled: 1-line block ×3, first 2 shown]
	s_waitcnt lgkmcnt(0)
	s_barrier
	buffer_gl0_inv
	ds_write2_b64 v67, v[22:23], v[24:25] offset1:78
	ds_write2_b64 v67, v[28:29], v[30:31] offset0:156 offset1:234
	ds_write2_b64 v68, v[32:33], v[34:35] offset0:56 offset1:134
	ds_write_b64 v67, v[36:37] offset:3744
	s_and_saveexec_b32 s1, s0
	s_cbranch_execz .LBB0_31
; %bb.30:
	v_add_f64 v[22:23], v[56:57], v[50:51]
	v_add_f64 v[24:25], v[58:59], v[64:65]
	v_add_f64 v[28:29], v[60:61], v[48:49]
	v_add_f64 v[26:27], v[26:27], -v[62:63]
	v_add_f64 v[30:31], v[52:53], -v[54:55]
	;; [unrolled: 1-line block ×3, first 2 shown]
	s_mov_b32 s6, 0x36b3c0b5
	s_mov_b32 s7, 0x3fac98ee
	;; [unrolled: 1-line block ×6, first 2 shown]
	v_add_f64 v[32:33], v[24:25], v[22:23]
	v_add_f64 v[34:35], v[22:23], -v[28:29]
	v_add_f64 v[36:37], v[28:29], -v[24:25]
	;; [unrolled: 1-line block ×5, first 2 shown]
	v_add_f64 v[24:25], v[30:31], v[26:27]
	v_add_f64 v[26:27], v[20:21], -v[30:31]
	v_add_f64 v[28:29], v[28:29], v[32:33]
	v_mul_f64 v[30:31], v[34:35], s[4:5]
	s_mov_b32 s4, 0x429ad128
	v_mul_f64 v[32:33], v[36:37], s[6:7]
	v_mul_f64 v[34:35], v[38:39], s[10:11]
	s_mov_b32 s5, 0xbfebfeb5
	s_mov_b32 s10, 0xaaaaaaaa
	v_mul_f64 v[38:39], v[40:41], s[4:5]
	s_mov_b32 s11, 0xbff2aaaa
	v_add_f64 v[20:21], v[24:25], v[20:21]
	v_add_f64 v[14:15], v[14:15], v[28:29]
	v_fma_f64 v[24:25], v[36:37], s[6:7], v[30:31]
	v_fma_f64 v[32:33], v[22:23], s[12:13], -v[32:33]
	s_mov_b32 s13, 0xbfe77f67
	v_fma_f64 v[36:37], v[26:27], s[14:15], v[34:35]
	s_mov_b32 s15, 0x3fd5d0dc
	v_fma_f64 v[34:35], v[40:41], s[4:5], -v[34:35]
	v_fma_f64 v[26:27], v[26:27], s[14:15], -v[38:39]
	;; [unrolled: 1-line block ×3, first 2 shown]
	s_mov_b32 s4, 0x37c3f68c
	s_mov_b32 s5, 0xbfdc38aa
	v_fma_f64 v[28:29], v[28:29], s[10:11], v[14:15]
	v_fma_f64 v[30:31], v[20:21], s[4:5], v[36:37]
	;; [unrolled: 1-line block ×4, first 2 shown]
	v_add_f64 v[24:25], v[24:25], v[28:29]
	v_add_f64 v[22:23], v[22:23], v[28:29]
	;; [unrolled: 1-line block ×3, first 2 shown]
	v_add_f64 v[28:29], v[24:25], -v[30:31]
	v_add_f64 v[32:33], v[22:23], -v[20:21]
	v_add_f64 v[36:37], v[34:35], v[26:27]
	v_add_f64 v[26:27], v[26:27], -v[34:35]
	v_add_f64 v[20:21], v[20:21], v[22:23]
	v_add_f64 v[22:23], v[30:31], v[24:25]
	v_add_nc_u32_e32 v24, 0x2000, v66
	v_add_nc_u32_e32 v25, 0x2400, v66
	;; [unrolled: 1-line block ×3, first 2 shown]
	ds_write2_b64 v24, v[14:15], v[28:29] offset0:68 offset1:146
	ds_write2_b64 v25, v[32:33], v[36:37] offset0:96 offset1:174
	;; [unrolled: 1-line block ×3, first 2 shown]
	ds_write_b64 v66, v[22:23] offset:12480
.LBB0_31:
	s_or_b32 exec_lo, exec_lo, s1
	s_waitcnt lgkmcnt(0)
	s_barrier
	buffer_gl0_inv
	s_and_saveexec_b32 s0, vcc_lo
	s_cbranch_execz .LBB0_33
; %bb.32:
	v_lshlrev_b32_e32 v14, 1, v85
	v_mov_b32_e32 v15, 0
	v_add_nc_u32_e32 v48, 0x2000, v149
	s_mov_b32 s0, 0xe8584caa
	s_mov_b32 s1, 0xbfebb67a
	;; [unrolled: 1-line block ×3, first 2 shown]
	v_lshlrev_b64 v[20:21], 4, v[14:15]
	v_lshlrev_b32_e32 v14, 1, v86
	v_mov_b32_e32 v75, v15
	s_mov_b32 s4, s0
	v_lshlrev_b64 v[28:29], 4, v[14:15]
	v_add_co_u32 v22, vcc_lo, s8, v20
	v_add_co_ci_u32_e32 v23, vcc_lo, s9, v21, vcc_lo
	v_lshlrev_b32_e32 v14, 1, v74
	v_add_co_u32 v20, vcc_lo, 0x2000, v22
	v_add_co_ci_u32_e32 v21, vcc_lo, 0, v23, vcc_lo
	v_add_co_u32 v24, vcc_lo, 0x2150, v22
	v_add_co_ci_u32_e32 v25, vcc_lo, 0, v23, vcc_lo
	;; [unrolled: 2-line block ×3, first 2 shown]
	v_lshlrev_b64 v[28:29], 4, v[14:15]
	v_add_co_u32 v32, vcc_lo, 0x2150, v30
	v_add_co_ci_u32_e32 v33, vcc_lo, 0, v31, vcc_lo
	s_clause 0x1
	global_load_dwordx4 v[20:23], v[20:21], off offset:336
	global_load_dwordx4 v[24:27], v[24:25], off offset:16
	v_add_co_u32 v14, vcc_lo, s8, v28
	v_add_co_ci_u32_e32 v34, vcc_lo, s9, v29, vcc_lo
	v_add_co_u32 v28, vcc_lo, 0x2000, v30
	v_add_co_ci_u32_e32 v29, vcc_lo, 0, v31, vcc_lo
	;; [unrolled: 2-line block ×4, first 2 shown]
	s_clause 0x3
	global_load_dwordx4 v[28:31], v[28:29], off offset:336
	global_load_dwordx4 v[32:35], v[32:33], off offset:16
	;; [unrolled: 1-line block ×4, first 2 shown]
	v_add_nc_u32_e32 v14, 0x1600, v149
	ds_read2_b64 v[44:47], v14 offset0:24 offset1:206
	ds_read_b64 v[60:61], v149 offset:11648
	v_add_nc_u32_e32 v14, 0xa00, v149
	ds_read2_b64 v[48:51], v48 offset0:68 offset1:250
	ds_read2_b64 v[52:55], v14 offset0:44 offset1:226
	ds_read2_b64 v[56:59], v149 offset1:182
	v_lshrrev_b32_e32 v14, 1, v85
	v_lshlrev_b64 v[74:75], 4, v[74:75]
	v_mul_hi_u32 v14, 0xf00f00f1, v14
	v_lshrrev_b32_e32 v14, 8, v14
	v_mad_u32_u24 v14, 0x444, v14, v85
	s_waitcnt vmcnt(5)
	v_mul_f64 v[62:63], v[18:19], v[22:23]
	s_waitcnt vmcnt(4)
	v_mul_f64 v[64:65], v[12:13], v[26:27]
	s_waitcnt lgkmcnt(4)
	v_mul_f64 v[22:23], v[46:47], v[22:23]
	s_waitcnt lgkmcnt(3)
	v_mul_f64 v[26:27], v[60:61], v[26:27]
	s_waitcnt vmcnt(3)
	v_mul_f64 v[66:67], v[16:17], v[30:31]
	s_waitcnt vmcnt(2)
	v_mul_f64 v[68:69], v[10:11], v[34:35]
	v_mul_f64 v[30:31], v[44:45], v[30:31]
	s_waitcnt lgkmcnt(2)
	v_mul_f64 v[34:35], v[50:51], v[34:35]
	s_waitcnt vmcnt(1)
	v_mul_f64 v[70:71], v[6:7], v[38:39]
	s_waitcnt vmcnt(0)
	v_mul_f64 v[76:77], v[8:9], v[42:43]
	s_waitcnt lgkmcnt(1)
	v_mul_f64 v[38:39], v[54:55], v[38:39]
	v_mul_f64 v[42:43], v[48:49], v[42:43]
	v_fma_f64 v[46:47], v[46:47], v[20:21], -v[62:63]
	v_fma_f64 v[60:61], v[60:61], v[24:25], -v[64:65]
	v_fma_f64 v[18:19], v[18:19], v[20:21], v[22:23]
	v_fma_f64 v[12:13], v[12:13], v[24:25], v[26:27]
	v_fma_f64 v[20:21], v[44:45], v[28:29], -v[66:67]
	v_fma_f64 v[22:23], v[50:51], v[32:33], -v[68:69]
	v_fma_f64 v[16:17], v[16:17], v[28:29], v[30:31]
	v_fma_f64 v[10:11], v[10:11], v[32:33], v[34:35]
	;; [unrolled: 4-line block ×3, first 2 shown]
	v_add_f64 v[54:55], v[52:53], v[46:47]
	v_add_f64 v[28:29], v[46:47], v[60:61]
	v_add_f64 v[46:47], v[46:47], -v[60:61]
	v_add_f64 v[30:31], v[18:19], v[12:13]
	v_add_f64 v[50:51], v[18:19], -v[12:13]
	v_add_f64 v[18:19], v[4:5], v[18:19]
	v_add_co_u32 v76, vcc_lo, s2, v72
	v_add_co_ci_u32_e32 v77, vcc_lo, s3, v73, vcc_lo
	v_add_co_u32 v36, vcc_lo, v76, v74
	v_add_co_ci_u32_e32 v37, vcc_lo, v77, v75, vcc_lo
	v_add_f64 v[32:33], v[20:21], v[22:23]
	s_waitcnt lgkmcnt(0)
	v_add_f64 v[62:63], v[58:59], v[20:21]
	v_add_f64 v[34:35], v[16:17], v[10:11]
	v_add_f64 v[64:65], v[2:3], v[16:17]
	v_add_f64 v[40:41], v[24:25], v[26:27]
	v_add_f64 v[66:67], v[56:57], v[24:25]
	v_add_f64 v[44:45], v[6:7], v[8:9]
	v_add_f64 v[68:69], v[0:1], v[6:7]
	v_fma_f64 v[28:29], v[28:29], -0.5, v[52:53]
	v_add_f64 v[52:53], v[16:17], -v[10:11]
	v_add_f64 v[70:71], v[6:7], -v[8:9]
	v_fma_f64 v[30:31], v[30:31], -0.5, v[4:5]
	v_add_co_u32 v38, vcc_lo, 0x2000, v36
	v_add_co_ci_u32_e32 v39, vcc_lo, 0, v37, vcc_lo
	v_add_co_u32 v42, vcc_lo, 0x4000, v36
	v_add_co_ci_u32_e32 v43, vcc_lo, 0, v37, vcc_lo
	v_add_co_u32 v48, vcc_lo, 0x800, v36
	v_fma_f64 v[32:33], v[32:33], -0.5, v[58:59]
	v_add_f64 v[58:59], v[20:21], -v[22:23]
	v_fma_f64 v[34:35], v[34:35], -0.5, v[2:3]
	v_add_f64 v[6:7], v[62:63], v[22:23]
	v_fma_f64 v[40:41], v[40:41], -0.5, v[56:57]
	v_add_f64 v[56:57], v[24:25], -v[26:27]
	v_fma_f64 v[44:45], v[44:45], -0.5, v[0:1]
	v_add_f64 v[4:5], v[64:65], v[10:11]
	v_add_f64 v[10:11], v[66:67], v[26:27]
	;; [unrolled: 1-line block ×3, first 2 shown]
	v_lshlrev_b64 v[74:75], 4, v[14:15]
	v_add_f64 v[0:1], v[18:19], v[12:13]
	v_fma_f64 v[14:15], v[50:51], s[0:1], v[28:29]
	v_fma_f64 v[18:19], v[50:51], s[4:5], v[28:29]
	;; [unrolled: 1-line block ×4, first 2 shown]
	v_add_f64 v[2:3], v[54:55], v[60:61]
	v_add_co_ci_u32_e32 v49, vcc_lo, 0, v37, vcc_lo
	v_add_co_u32 v72, vcc_lo, 0x2800, v36
	v_add_co_ci_u32_e32 v73, vcc_lo, 0, v37, vcc_lo
	v_fma_f64 v[26:27], v[52:53], s[4:5], v[32:33]
	v_fma_f64 v[24:25], v[58:59], s[0:1], v[34:35]
	;; [unrolled: 1-line block ×8, first 2 shown]
	v_add_co_u32 v40, vcc_lo, v76, v74
	v_add_co_ci_u32_e32 v41, vcc_lo, v77, v75, vcc_lo
	v_add_co_u32 v44, vcc_lo, 0x4800, v36
	v_add_co_ci_u32_e32 v45, vcc_lo, 0, v37, vcc_lo
	;; [unrolled: 2-line block ×4, first 2 shown]
	global_store_dwordx4 v[48:49], v[4:7], off offset:864
	global_store_dwordx4 v[36:37], v[8:11], off
	global_store_dwordx4 v[72:73], v[24:27], off offset:1408
	global_store_dwordx4 v[44:45], v[20:23], off offset:1952
	;; [unrolled: 1-line block ×4, first 2 shown]
	global_store_dwordx4 v[40:41], v[0:3], off
	global_store_dwordx4 v[46:47], v[16:19], off offset:544
	global_store_dwordx4 v[50:51], v[12:15], off offset:1088
.LBB0_33:
	s_endpgm
	.section	.rodata,"a",@progbits
	.p2align	6, 0x0
	.amdhsa_kernel fft_rtc_back_len1638_factors_13_2_3_7_3_wgs_182_tpt_182_halfLds_dp_ip_CI_unitstride_sbrr_dirReg
		.amdhsa_group_segment_fixed_size 0
		.amdhsa_private_segment_fixed_size 0
		.amdhsa_kernarg_size 88
		.amdhsa_user_sgpr_count 6
		.amdhsa_user_sgpr_private_segment_buffer 1
		.amdhsa_user_sgpr_dispatch_ptr 0
		.amdhsa_user_sgpr_queue_ptr 0
		.amdhsa_user_sgpr_kernarg_segment_ptr 1
		.amdhsa_user_sgpr_dispatch_id 0
		.amdhsa_user_sgpr_flat_scratch_init 0
		.amdhsa_user_sgpr_private_segment_size 0
		.amdhsa_wavefront_size32 1
		.amdhsa_uses_dynamic_stack 0
		.amdhsa_system_sgpr_private_segment_wavefront_offset 0
		.amdhsa_system_sgpr_workgroup_id_x 1
		.amdhsa_system_sgpr_workgroup_id_y 0
		.amdhsa_system_sgpr_workgroup_id_z 0
		.amdhsa_system_sgpr_workgroup_info 0
		.amdhsa_system_vgpr_workitem_id 0
		.amdhsa_next_free_vgpr 173
		.amdhsa_next_free_sgpr 44
		.amdhsa_reserve_vcc 1
		.amdhsa_reserve_flat_scratch 0
		.amdhsa_float_round_mode_32 0
		.amdhsa_float_round_mode_16_64 0
		.amdhsa_float_denorm_mode_32 3
		.amdhsa_float_denorm_mode_16_64 3
		.amdhsa_dx10_clamp 1
		.amdhsa_ieee_mode 1
		.amdhsa_fp16_overflow 0
		.amdhsa_workgroup_processor_mode 1
		.amdhsa_memory_ordered 1
		.amdhsa_forward_progress 0
		.amdhsa_shared_vgpr_count 0
		.amdhsa_exception_fp_ieee_invalid_op 0
		.amdhsa_exception_fp_denorm_src 0
		.amdhsa_exception_fp_ieee_div_zero 0
		.amdhsa_exception_fp_ieee_overflow 0
		.amdhsa_exception_fp_ieee_underflow 0
		.amdhsa_exception_fp_ieee_inexact 0
		.amdhsa_exception_int_div_zero 0
	.end_amdhsa_kernel
	.text
.Lfunc_end0:
	.size	fft_rtc_back_len1638_factors_13_2_3_7_3_wgs_182_tpt_182_halfLds_dp_ip_CI_unitstride_sbrr_dirReg, .Lfunc_end0-fft_rtc_back_len1638_factors_13_2_3_7_3_wgs_182_tpt_182_halfLds_dp_ip_CI_unitstride_sbrr_dirReg
                                        ; -- End function
	.section	.AMDGPU.csdata,"",@progbits
; Kernel info:
; codeLenInByte = 12184
; NumSgprs: 46
; NumVgprs: 173
; ScratchSize: 0
; MemoryBound: 1
; FloatMode: 240
; IeeeMode: 1
; LDSByteSize: 0 bytes/workgroup (compile time only)
; SGPRBlocks: 5
; VGPRBlocks: 21
; NumSGPRsForWavesPerEU: 46
; NumVGPRsForWavesPerEU: 173
; Occupancy: 5
; WaveLimiterHint : 1
; COMPUTE_PGM_RSRC2:SCRATCH_EN: 0
; COMPUTE_PGM_RSRC2:USER_SGPR: 6
; COMPUTE_PGM_RSRC2:TRAP_HANDLER: 0
; COMPUTE_PGM_RSRC2:TGID_X_EN: 1
; COMPUTE_PGM_RSRC2:TGID_Y_EN: 0
; COMPUTE_PGM_RSRC2:TGID_Z_EN: 0
; COMPUTE_PGM_RSRC2:TIDIG_COMP_CNT: 0
	.text
	.p2alignl 6, 3214868480
	.fill 48, 4, 3214868480
	.type	__hip_cuid_bd215c2e89a183ec,@object ; @__hip_cuid_bd215c2e89a183ec
	.section	.bss,"aw",@nobits
	.globl	__hip_cuid_bd215c2e89a183ec
__hip_cuid_bd215c2e89a183ec:
	.byte	0                               ; 0x0
	.size	__hip_cuid_bd215c2e89a183ec, 1

	.ident	"AMD clang version 19.0.0git (https://github.com/RadeonOpenCompute/llvm-project roc-6.4.0 25133 c7fe45cf4b819c5991fe208aaa96edf142730f1d)"
	.section	".note.GNU-stack","",@progbits
	.addrsig
	.addrsig_sym __hip_cuid_bd215c2e89a183ec
	.amdgpu_metadata
---
amdhsa.kernels:
  - .args:
      - .actual_access:  read_only
        .address_space:  global
        .offset:         0
        .size:           8
        .value_kind:     global_buffer
      - .offset:         8
        .size:           8
        .value_kind:     by_value
      - .actual_access:  read_only
        .address_space:  global
        .offset:         16
        .size:           8
        .value_kind:     global_buffer
      - .actual_access:  read_only
        .address_space:  global
        .offset:         24
        .size:           8
        .value_kind:     global_buffer
      - .offset:         32
        .size:           8
        .value_kind:     by_value
      - .actual_access:  read_only
        .address_space:  global
        .offset:         40
        .size:           8
        .value_kind:     global_buffer
      - .actual_access:  read_only
        .address_space:  global
        .offset:         48
        .size:           8
        .value_kind:     global_buffer
      - .offset:         56
        .size:           4
        .value_kind:     by_value
      - .actual_access:  read_only
        .address_space:  global
        .offset:         64
        .size:           8
        .value_kind:     global_buffer
      - .actual_access:  read_only
        .address_space:  global
        .offset:         72
        .size:           8
        .value_kind:     global_buffer
      - .address_space:  global
        .offset:         80
        .size:           8
        .value_kind:     global_buffer
    .group_segment_fixed_size: 0
    .kernarg_segment_align: 8
    .kernarg_segment_size: 88
    .language:       OpenCL C
    .language_version:
      - 2
      - 0
    .max_flat_workgroup_size: 182
    .name:           fft_rtc_back_len1638_factors_13_2_3_7_3_wgs_182_tpt_182_halfLds_dp_ip_CI_unitstride_sbrr_dirReg
    .private_segment_fixed_size: 0
    .sgpr_count:     46
    .sgpr_spill_count: 0
    .symbol:         fft_rtc_back_len1638_factors_13_2_3_7_3_wgs_182_tpt_182_halfLds_dp_ip_CI_unitstride_sbrr_dirReg.kd
    .uniform_work_group_size: 1
    .uses_dynamic_stack: false
    .vgpr_count:     173
    .vgpr_spill_count: 0
    .wavefront_size: 32
    .workgroup_processor_mode: 1
amdhsa.target:   amdgcn-amd-amdhsa--gfx1030
amdhsa.version:
  - 1
  - 2
...

	.end_amdgpu_metadata
